;; amdgpu-corpus repo=zjin-lcf/HeCBench kind=compiled arch=gfx950 opt=O3
	.amdgcn_target "amdgcn-amd-amdhsa--gfx950"
	.amdhsa_code_object_version 6
	.text
	.protected	_Z11firstColGPUPji      ; -- Begin function _Z11firstColGPUPji
	.globl	_Z11firstColGPUPji
	.p2align	8
	.type	_Z11firstColGPUPji,@function
_Z11firstColGPUPji:                     ; @_Z11firstColGPUPji
; %bb.0:
	s_load_dwordx2 s[2:3], s[0:1], 0x0
	s_load_dword s4, s[0:1], 0x8
	v_lshlrev_b32_e32 v2, 2, v0
	s_waitcnt lgkmcnt(0)
	global_load_dword v1, v2, s[2:3]
	s_cmpk_lt_i32 s4, 0x200
	s_waitcnt vmcnt(0)
	ds_write_b32 v2, v1
	s_waitcnt lgkmcnt(0)
	s_barrier
	s_cbranch_scc1 .LBB0_19
; %bb.1:
	v_mov_b32_e32 v3, 0
	s_lshr_b32 s4, s4, 8
	v_cmp_gt_u32_e32 vcc, 32, v0
	v_lshl_add_u64 v[0:1], s[2:3], 0, v[2:3]
	s_mov_b64 s[0:1], 0x400
	v_lshl_add_u64 v[0:1], v[0:1], 0, s[0:1]
	s_add_i32 s4, s4, -1
	v_add_u32_e32 v3, 36, v2
	v_add_u32_e32 v4, 0xa4, v2
	;; [unrolled: 1-line block ×3, first 2 shown]
	s_branch .LBB0_3
.LBB0_2:                                ;   in Loop: Header=BB0_3 Depth=1
	s_or_b64 exec, exec, s[2:3]
	s_waitcnt lgkmcnt(0)
	s_barrier
	ds_read_b32 v6, v2 offset:1024
	s_add_i32 s4, s4, -1
	s_cmp_eq_u32 s4, 0
	s_waitcnt lgkmcnt(0)
	global_store_dword v[0:1], v6, off
	v_lshl_add_u64 v[0:1], v[0:1], 0, s[0:1]
	ds_write_b32 v2, v6
	s_waitcnt lgkmcnt(0)
	s_barrier
	s_cbranch_scc1 .LBB0_19
.LBB0_3:                                ; =>This Inner Loop Header: Depth=1
	s_and_saveexec_b64 s[2:3], vcc
	s_cbranch_execz .LBB0_5
; %bb.4:                                ;   in Loop: Header=BB0_3 Depth=1
	ds_read2_b32 v[6:7], v2 offset0:137 offset1:201
	ds_read2_b32 v[8:9], v2 offset1:77
	s_waitcnt lgkmcnt(1)
	v_add_u32_e32 v6, v6, v7
	s_waitcnt lgkmcnt(0)
	v_add3_u32 v6, v6, v9, v8
	ds_write_b32 v2, v6 offset:1024
.LBB0_5:                                ;   in Loop: Header=BB0_3 Depth=1
	s_or_b64 exec, exec, s[2:3]
	s_waitcnt lgkmcnt(0)
	s_barrier
	s_and_saveexec_b64 s[2:3], vcc
	s_cbranch_execz .LBB0_7
; %bb.6:                                ;   in Loop: Header=BB0_3 Depth=1
	ds_read2_b32 v[6:7], v2 offset0:169 offset1:233
	ds_read2_b32 v[8:9], v2 offset0:32 offset1:109
	s_waitcnt lgkmcnt(1)
	v_add_u32_e32 v6, v6, v7
	s_waitcnt lgkmcnt(0)
	v_add3_u32 v6, v6, v9, v8
	ds_write_b32 v2, v6 offset:1152
.LBB0_7:                                ;   in Loop: Header=BB0_3 Depth=1
	s_or_b64 exec, exec, s[2:3]
	s_waitcnt lgkmcnt(0)
	s_barrier
	s_and_saveexec_b64 s[2:3], vcc
	s_cbranch_execz .LBB0_9
; %bb.8:                                ;   in Loop: Header=BB0_3 Depth=1
	ds_read2st64_b32 v[6:7], v3 offset0:3 offset1:4
	ds_read2_b32 v[8:9], v2 offset0:64 offset1:141
	s_waitcnt lgkmcnt(1)
	v_add_u32_e32 v6, v6, v7
	s_waitcnt lgkmcnt(0)
	v_add3_u32 v6, v6, v9, v8
	ds_write_b32 v2, v6 offset:1280
.LBB0_9:                                ;   in Loop: Header=BB0_3 Depth=1
	s_or_b64 exec, exec, s[2:3]
	s_waitcnt lgkmcnt(0)
	s_barrier
	s_and_saveexec_b64 s[2:3], vcc
	s_cbranch_execz .LBB0_11
; %bb.10:                               ;   in Loop: Header=BB0_3 Depth=1
	ds_read2st64_b32 v[6:7], v4 offset0:3 offset1:4
	ds_read2_b32 v[8:9], v2 offset0:96 offset1:173
	s_waitcnt lgkmcnt(1)
	v_add_u32_e32 v6, v6, v7
	s_waitcnt lgkmcnt(0)
	v_add3_u32 v6, v6, v9, v8
	ds_write_b32 v2, v6 offset:1408
.LBB0_11:                               ;   in Loop: Header=BB0_3 Depth=1
	s_or_b64 exec, exec, s[2:3]
	s_waitcnt lgkmcnt(0)
	s_barrier
	s_and_saveexec_b64 s[2:3], vcc
	s_cbranch_execz .LBB0_13
; %bb.12:                               ;   in Loop: Header=BB0_3 Depth=1
	ds_read2st64_b32 v[6:7], v3 offset0:4 offset1:5
	ds_read2_b32 v[8:9], v2 offset0:128 offset1:205
	s_waitcnt lgkmcnt(1)
	v_add_u32_e32 v6, v6, v7
	s_waitcnt lgkmcnt(0)
	v_add3_u32 v6, v6, v9, v8
	ds_write_b32 v2, v6 offset:1536
.LBB0_13:                               ;   in Loop: Header=BB0_3 Depth=1
	;; [unrolled: 14-line block ×4, first 2 shown]
	s_or_b64 exec, exec, s[2:3]
	s_waitcnt lgkmcnt(0)
	s_barrier
	s_and_saveexec_b64 s[2:3], vcc
	s_cbranch_execz .LBB0_2
; %bb.18:                               ;   in Loop: Header=BB0_3 Depth=1
	ds_read2st64_b32 v[6:7], v4 offset0:5 offset1:6
	ds_read2_b32 v[8:9], v5 offset0:96 offset1:173
	s_waitcnt lgkmcnt(1)
	v_add_u32_e32 v6, v6, v7
	s_waitcnt lgkmcnt(0)
	v_add3_u32 v6, v6, v9, v8
	ds_write_b32 v2, v6 offset:1920
	s_branch .LBB0_2
.LBB0_19:
	s_endpgm
	.section	.rodata,"a",@progbits
	.p2align	6, 0x0
	.amdhsa_kernel _Z11firstColGPUPji
		.amdhsa_group_segment_fixed_size 2048
		.amdhsa_private_segment_fixed_size 0
		.amdhsa_kernarg_size 12
		.amdhsa_user_sgpr_count 2
		.amdhsa_user_sgpr_dispatch_ptr 0
		.amdhsa_user_sgpr_queue_ptr 0
		.amdhsa_user_sgpr_kernarg_segment_ptr 1
		.amdhsa_user_sgpr_dispatch_id 0
		.amdhsa_user_sgpr_kernarg_preload_length 0
		.amdhsa_user_sgpr_kernarg_preload_offset 0
		.amdhsa_user_sgpr_private_segment_size 0
		.amdhsa_uses_dynamic_stack 0
		.amdhsa_enable_private_segment 0
		.amdhsa_system_sgpr_workgroup_id_x 1
		.amdhsa_system_sgpr_workgroup_id_y 0
		.amdhsa_system_sgpr_workgroup_id_z 0
		.amdhsa_system_sgpr_workgroup_info 0
		.amdhsa_system_vgpr_workitem_id 0
		.amdhsa_next_free_vgpr 10
		.amdhsa_next_free_sgpr 5
		.amdhsa_accum_offset 12
		.amdhsa_reserve_vcc 1
		.amdhsa_float_round_mode_32 0
		.amdhsa_float_round_mode_16_64 0
		.amdhsa_float_denorm_mode_32 3
		.amdhsa_float_denorm_mode_16_64 3
		.amdhsa_dx10_clamp 1
		.amdhsa_ieee_mode 1
		.amdhsa_fp16_overflow 0
		.amdhsa_tg_split 0
		.amdhsa_exception_fp_ieee_invalid_op 0
		.amdhsa_exception_fp_denorm_src 0
		.amdhsa_exception_fp_ieee_div_zero 0
		.amdhsa_exception_fp_ieee_overflow 0
		.amdhsa_exception_fp_ieee_underflow 0
		.amdhsa_exception_fp_ieee_inexact 0
		.amdhsa_exception_int_div_zero 0
	.end_amdhsa_kernel
	.text
.Lfunc_end0:
	.size	_Z11firstColGPUPji, .Lfunc_end0-_Z11firstColGPUPji
                                        ; -- End function
	.set _Z11firstColGPUPji.num_vgpr, 10
	.set _Z11firstColGPUPji.num_agpr, 0
	.set _Z11firstColGPUPji.numbered_sgpr, 5
	.set _Z11firstColGPUPji.num_named_barrier, 0
	.set _Z11firstColGPUPji.private_seg_size, 0
	.set _Z11firstColGPUPji.uses_vcc, 1
	.set _Z11firstColGPUPji.uses_flat_scratch, 0
	.set _Z11firstColGPUPji.has_dyn_sized_stack, 0
	.set _Z11firstColGPUPji.has_recursion, 0
	.set _Z11firstColGPUPji.has_indirect_call, 0
	.section	.AMDGPU.csdata,"",@progbits
; Kernel info:
; codeLenInByte = 700
; TotalNumSgprs: 11
; NumVgprs: 10
; NumAgprs: 0
; TotalNumVgprs: 10
; ScratchSize: 0
; MemoryBound: 0
; FloatMode: 240
; IeeeMode: 1
; LDSByteSize: 2048 bytes/workgroup (compile time only)
; SGPRBlocks: 1
; VGPRBlocks: 1
; NumSGPRsForWavesPerEU: 11
; NumVGPRsForWavesPerEU: 10
; AccumOffset: 12
; Occupancy: 8
; WaveLimiterHint : 0
; COMPUTE_PGM_RSRC2:SCRATCH_EN: 0
; COMPUTE_PGM_RSRC2:USER_SGPR: 2
; COMPUTE_PGM_RSRC2:TRAP_HANDLER: 0
; COMPUTE_PGM_RSRC2:TGID_X_EN: 1
; COMPUTE_PGM_RSRC2:TGID_Y_EN: 0
; COMPUTE_PGM_RSRC2:TGID_Z_EN: 0
; COMPUTE_PGM_RSRC2:TIDIG_COMP_CNT: 0
; COMPUTE_PGM_RSRC3_GFX90A:ACCUM_OFFSET: 2
; COMPUTE_PGM_RSRC3_GFX90A:TG_SPLIT: 0
	.text
	.protected	_Z7colYGPUPji           ; -- Begin function _Z7colYGPUPji
	.globl	_Z7colYGPUPji
	.p2align	8
	.type	_Z7colYGPUPji,@function
_Z7colYGPUPji:                          ; @_Z7colYGPUPji
; %bb.0:
	s_load_dwordx2 s[4:5], s[0:1], 0x0
	s_load_dword s2, s[0:1], 0x8
	v_lshlrev_b32_e32 v2, 2, v0
	v_mov_b32_e32 v3, 0
	s_waitcnt lgkmcnt(0)
	global_load_dword v1, v2, s[4:5] offset:2048
	v_lshl_add_u64 v[4:5], s[4:5], 0, v[2:3]
	s_cmpk_lt_i32 s2, 0x100
	s_waitcnt vmcnt(0)
	ds_write_b32 v2, v1 offset:2048
	s_waitcnt lgkmcnt(0)
	s_barrier
	s_cbranch_scc1 .LBB1_19
; %bb.1:
	s_ashr_i32 s0, s2, 31
	s_lshr_b32 s0, s0, 24
	s_add_i32 s2, s2, s0
	s_ashr_i32 s2, s2, 8
	v_cmp_gt_u32_e32 vcc, 32, v0
	v_add_u32_e32 v0, 36, v2
	v_add_u32_e32 v1, 0x400, v2
	;; [unrolled: 1-line block ×4, first 2 shown]
	s_branch .LBB1_3
.LBB1_2:                                ;   in Loop: Header=BB1_3 Depth=1
	s_or_b64 exec, exec, s[0:1]
	s_add_i32 s2, s2, -1
	s_cmp_eq_u32 s2, 0
	s_waitcnt lgkmcnt(0)
	s_barrier
	s_cbranch_scc1 .LBB1_19
.LBB1_3:                                ; =>This Inner Loop Header: Depth=1
	ds_read2st64_b32 v[8:9], v2 offset0:4 offset1:8
	s_waitcnt lgkmcnt(0)
	ds_write2st64_b32 v2, v8, v9 offset1:4
	s_waitcnt lgkmcnt(0)
	s_barrier
	s_and_saveexec_b64 s[0:1], vcc
	s_cbranch_execz .LBB1_5
; %bb.4:                                ;   in Loop: Header=BB1_3 Depth=1
	ds_read2st64_b32 v[8:9], v0 offset0:6 offset1:7
	ds_read2_b32 v[10:11], v1 offset1:77
	s_waitcnt lgkmcnt(1)
	v_add_u32_e32 v7, v8, v9
	s_waitcnt lgkmcnt(0)
	v_add3_u32 v7, v7, v11, v10
	ds_write_b32 v2, v7 offset:2048
.LBB1_5:                                ;   in Loop: Header=BB1_3 Depth=1
	s_or_b64 exec, exec, s[0:1]
	s_waitcnt lgkmcnt(0)
	s_barrier
	s_and_saveexec_b64 s[0:1], vcc
	s_cbranch_execz .LBB1_7
; %bb.6:                                ;   in Loop: Header=BB1_3 Depth=1
	ds_read2st64_b32 v[8:9], v3 offset0:6 offset1:7
	ds_read2_b32 v[10:11], v1 offset0:32 offset1:109
	s_waitcnt lgkmcnt(1)
	v_add_u32_e32 v7, v8, v9
	s_waitcnt lgkmcnt(0)
	v_add3_u32 v7, v7, v11, v10
	ds_write_b32 v2, v7 offset:2176
.LBB1_7:                                ;   in Loop: Header=BB1_3 Depth=1
	s_or_b64 exec, exec, s[0:1]
	s_waitcnt lgkmcnt(0)
	s_barrier
	s_and_saveexec_b64 s[0:1], vcc
	s_cbranch_execz .LBB1_9
; %bb.8:                                ;   in Loop: Header=BB1_3 Depth=1
	ds_read2st64_b32 v[8:9], v0 offset0:7 offset1:8
	ds_read2_b32 v[10:11], v1 offset0:64 offset1:141
	s_waitcnt lgkmcnt(1)
	v_add_u32_e32 v7, v8, v9
	s_waitcnt lgkmcnt(0)
	v_add3_u32 v7, v7, v11, v10
	ds_write_b32 v2, v7 offset:2304
.LBB1_9:                                ;   in Loop: Header=BB1_3 Depth=1
	s_or_b64 exec, exec, s[0:1]
	s_waitcnt lgkmcnt(0)
	s_barrier
	s_and_saveexec_b64 s[0:1], vcc
	s_cbranch_execz .LBB1_11
; %bb.10:                               ;   in Loop: Header=BB1_3 Depth=1
	ds_read2st64_b32 v[8:9], v3 offset0:7 offset1:8
	ds_read2_b32 v[10:11], v1 offset0:96 offset1:173
	s_waitcnt lgkmcnt(1)
	v_add_u32_e32 v7, v8, v9
	s_waitcnt lgkmcnt(0)
	v_add3_u32 v7, v7, v11, v10
	ds_write_b32 v2, v7 offset:2432
.LBB1_11:                               ;   in Loop: Header=BB1_3 Depth=1
	s_or_b64 exec, exec, s[0:1]
	s_waitcnt lgkmcnt(0)
	s_barrier
	s_and_saveexec_b64 s[0:1], vcc
	s_cbranch_execz .LBB1_13
; %bb.12:                               ;   in Loop: Header=BB1_3 Depth=1
	ds_read2st64_b32 v[8:9], v0 offset0:8 offset1:9
	ds_read2_b32 v[10:11], v1 offset0:128 offset1:205
	s_waitcnt lgkmcnt(1)
	v_add_u32_e32 v7, v8, v9
	s_waitcnt lgkmcnt(0)
	v_add3_u32 v7, v7, v11, v10
	ds_write_b32 v2, v7 offset:2560
.LBB1_13:                               ;   in Loop: Header=BB1_3 Depth=1
	;; [unrolled: 14-line block ×4, first 2 shown]
	s_or_b64 exec, exec, s[0:1]
	s_waitcnt lgkmcnt(0)
	s_barrier
	s_and_saveexec_b64 s[0:1], vcc
	s_cbranch_execz .LBB1_2
; %bb.18:                               ;   in Loop: Header=BB1_3 Depth=1
	ds_read2st64_b32 v[8:9], v3 offset0:9 offset1:10
	ds_read2_b32 v[10:11], v6 offset0:96 offset1:173
	s_waitcnt lgkmcnt(1)
	v_add_u32_e32 v7, v8, v9
	s_waitcnt lgkmcnt(0)
	v_add3_u32 v7, v7, v11, v10
	ds_write_b32 v2, v7 offset:2944
	s_branch .LBB1_2
.LBB1_19:
	ds_read_b32 v3, v2 offset:2048
	ds_read2st64_b32 v[0:1], v2 offset1:4
	s_waitcnt lgkmcnt(1)
	global_store_dword v[4:5], v3, off offset:2048
	s_waitcnt lgkmcnt(0)
	global_store_dword v[4:5], v1, off offset:1024
	global_store_dword v[4:5], v0, off
	s_endpgm
	.section	.rodata,"a",@progbits
	.p2align	6, 0x0
	.amdhsa_kernel _Z7colYGPUPji
		.amdhsa_group_segment_fixed_size 3072
		.amdhsa_private_segment_fixed_size 0
		.amdhsa_kernarg_size 12
		.amdhsa_user_sgpr_count 2
		.amdhsa_user_sgpr_dispatch_ptr 0
		.amdhsa_user_sgpr_queue_ptr 0
		.amdhsa_user_sgpr_kernarg_segment_ptr 1
		.amdhsa_user_sgpr_dispatch_id 0
		.amdhsa_user_sgpr_kernarg_preload_length 0
		.amdhsa_user_sgpr_kernarg_preload_offset 0
		.amdhsa_user_sgpr_private_segment_size 0
		.amdhsa_uses_dynamic_stack 0
		.amdhsa_enable_private_segment 0
		.amdhsa_system_sgpr_workgroup_id_x 1
		.amdhsa_system_sgpr_workgroup_id_y 0
		.amdhsa_system_sgpr_workgroup_id_z 0
		.amdhsa_system_sgpr_workgroup_info 0
		.amdhsa_system_vgpr_workitem_id 0
		.amdhsa_next_free_vgpr 12
		.amdhsa_next_free_sgpr 6
		.amdhsa_accum_offset 12
		.amdhsa_reserve_vcc 1
		.amdhsa_float_round_mode_32 0
		.amdhsa_float_round_mode_16_64 0
		.amdhsa_float_denorm_mode_32 3
		.amdhsa_float_denorm_mode_16_64 3
		.amdhsa_dx10_clamp 1
		.amdhsa_ieee_mode 1
		.amdhsa_fp16_overflow 0
		.amdhsa_tg_split 0
		.amdhsa_exception_fp_ieee_invalid_op 0
		.amdhsa_exception_fp_denorm_src 0
		.amdhsa_exception_fp_ieee_div_zero 0
		.amdhsa_exception_fp_ieee_overflow 0
		.amdhsa_exception_fp_ieee_underflow 0
		.amdhsa_exception_fp_ieee_inexact 0
		.amdhsa_exception_int_div_zero 0
	.end_amdhsa_kernel
	.text
.Lfunc_end1:
	.size	_Z7colYGPUPji, .Lfunc_end1-_Z7colYGPUPji
                                        ; -- End function
	.set _Z7colYGPUPji.num_vgpr, 12
	.set _Z7colYGPUPji.num_agpr, 0
	.set _Z7colYGPUPji.numbered_sgpr, 6
	.set _Z7colYGPUPji.num_named_barrier, 0
	.set _Z7colYGPUPji.private_seg_size, 0
	.set _Z7colYGPUPji.uses_vcc, 1
	.set _Z7colYGPUPji.uses_flat_scratch, 0
	.set _Z7colYGPUPji.has_dyn_sized_stack, 0
	.set _Z7colYGPUPji.has_recursion, 0
	.set _Z7colYGPUPji.has_indirect_call, 0
	.section	.AMDGPU.csdata,"",@progbits
; Kernel info:
; codeLenInByte = 732
; TotalNumSgprs: 12
; NumVgprs: 12
; NumAgprs: 0
; TotalNumVgprs: 12
; ScratchSize: 0
; MemoryBound: 0
; FloatMode: 240
; IeeeMode: 1
; LDSByteSize: 3072 bytes/workgroup (compile time only)
; SGPRBlocks: 1
; VGPRBlocks: 1
; NumSGPRsForWavesPerEU: 12
; NumVGPRsForWavesPerEU: 12
; AccumOffset: 12
; Occupancy: 8
; WaveLimiterHint : 1
; COMPUTE_PGM_RSRC2:SCRATCH_EN: 0
; COMPUTE_PGM_RSRC2:USER_SGPR: 2
; COMPUTE_PGM_RSRC2:TRAP_HANDLER: 0
; COMPUTE_PGM_RSRC2:TGID_X_EN: 1
; COMPUTE_PGM_RSRC2:TGID_Y_EN: 0
; COMPUTE_PGM_RSRC2:TGID_Z_EN: 0
; COMPUTE_PGM_RSRC2:TIDIG_COMP_CNT: 0
; COMPUTE_PGM_RSRC3_GFX90A:ACCUM_OFFSET: 2
; COMPUTE_PGM_RSRC3_GFX90A:TG_SPLIT: 0
	.text
	.protected	_Z10lastEntGPUPjS_ii    ; -- Begin function _Z10lastEntGPUPjS_ii
	.globl	_Z10lastEntGPUPjS_ii
	.p2align	8
	.type	_Z10lastEntGPUPjS_ii,@function
_Z10lastEntGPUPjS_ii:                   ; @_Z10lastEntGPUPjS_ii
; %bb.0:
	s_load_dwordx2 s[2:3], s[0:1], 0x8
	v_lshlrev_b32_e32 v32, 2, v0
	s_movk_i32 s4, 0x100
	v_cmp_gt_u32_e32 vcc, s4, v0
	s_waitcnt lgkmcnt(0)
	global_load_dword v1, v32, s[2:3]
	s_waitcnt vmcnt(0)
	ds_write_b32 v32, v1
	s_waitcnt lgkmcnt(0)
	s_barrier
	s_and_saveexec_b64 s[4:5], vcc
	s_cbranch_execz .LBB2_2
; %bb.1:
	v_mov_b32_e32 v33, 0
	v_lshl_add_u64 v[2:3], s[2:3], 0, v[32:33]
	global_load_dword v1, v[2:3], off offset:2048
	s_waitcnt vmcnt(0)
	ds_write_b32 v32, v1 offset:2048
.LBB2_2:
	s_or_b64 exec, exec, s[4:5]
	s_waitcnt lgkmcnt(0)
	s_barrier
	ds_read_b32 v1, v32 offset:1024
	s_load_dwordx2 s[2:3], s[0:1], 0x10
	s_waitcnt lgkmcnt(0)
	ds_write2st64_b32 v32, v1, v1 offset0:12 offset1:20
	ds_write_b32 v32, v1 offset:7168
	s_waitcnt lgkmcnt(0)
	s_barrier
	ds_read_b32 v1, v32 offset:716
	ds_read_b32 v2, v32 offset:3072
	s_cmp_lt_i32 s3, 2
	s_waitcnt lgkmcnt(0)
	v_add_u32_e32 v1, v2, v1
	ds_write_b32 v32, v1 offset:3072
	s_waitcnt lgkmcnt(0)
	s_barrier
	ds_read2_b32 v[2:3], v32 offset0:119 offset1:196
	ds_read_b32 v1, v32 offset:5120
	s_waitcnt lgkmcnt(0)
	v_add3_u32 v1, v2, v3, v1
	ds_write_b32 v32, v1 offset:5120
	s_waitcnt lgkmcnt(0)
	s_barrier
	ds_read2st64_b32 v[2:3], v32 offset0:3 offset1:28
	ds_read2_b32 v[4:5], v32 offset0:55 offset1:132
	s_waitcnt lgkmcnt(0)
	v_add_u32_e32 v1, v5, v2
	v_add3_u32 v1, v1, v4, v3
	ds_write_b32 v32, v1 offset:7168
	s_waitcnt lgkmcnt(0)
	s_barrier
	s_cbranch_scc1 .LBB2_11
; %bb.3:
	s_load_dwordx2 s[0:1], s[0:1], 0x0
	v_add_u32_e32 v0, s2, v0
	v_add_u32_e32 v31, 0xc00, v32
	;; [unrolled: 1-line block ×4, first 2 shown]
	s_waitcnt lgkmcnt(0)
	s_add_u32 s12, s0, 0xfffffc00
	s_addc_u32 s13, s1, -1
	s_add_u32 s14, s0, 0xfffffe24
	v_ashrrev_i32_e32 v35, 31, v34
	v_add_u32_e32 v40, 0x7f4, v32
	v_add_u32_e32 v41, 0x17c4, v32
	s_addc_u32 s15, s1, -1
	s_mov_b32 s16, 1
	v_mov_b32_e32 v42, 0
	v_add_u32_e32 v43, 0x3fc, v31
	s_mov_b32 s4, s2
	s_branch .LBB2_5
.LBB2_4:                                ;   in Loop: Header=BB2_5 Depth=1
	s_or_b64 exec, exec, s[6:7]
	s_add_i32 s16, s16, 1
	s_add_i32 s4, s4, s2
	s_cmp_eq_u32 s16, s3
	s_barrier
	s_cbranch_scc1 .LBB2_11
.LBB2_5:                                ; =>This Loop Header: Depth=1
                                        ;     Child Loop BB2_7 Depth 2
                                        ;     Child Loop BB2_9 Depth 2
	s_and_saveexec_b64 s[6:7], vcc
	s_cbranch_execz .LBB2_4
; %bb.6:                                ;   in Loop: Header=BB2_5 Depth=1
	s_ashr_i32 s5, s4, 31
	s_lshl_b64 s[8:9], s[4:5], 2
	s_add_u32 s10, s12, s8
	s_addc_u32 s11, s13, s9
	s_mov_b32 s5, 0
	v_mov_b32_e32 v44, 0
	v_mov_b32_e32 v45, 0
.LBB2_7:                                ;   Parent Loop BB2_5 Depth=1
                                        ; =>  This Inner Loop Header: Depth=2
	global_load_dwordx4 v[0:3], v42, s[10:11]
	v_add_u32_e32 v6, s5, v40
	ds_read2_b32 v[4:5], v6 offset0:2 offset1:3
	ds_read2_b32 v[6:7], v6 offset1:1
	s_add_i32 s5, s5, -16
	s_add_u32 s10, s10, 16
	s_addc_u32 s11, s11, 0
	s_cmpk_lg_i32 s5, 0xfed0
	s_waitcnt vmcnt(0) lgkmcnt(1)
	v_mul_lo_u32 v0, v5, v0
	v_mul_lo_u32 v1, v4, v1
	s_waitcnt lgkmcnt(0)
	v_mul_lo_u32 v2, v7, v2
	v_mul_lo_u32 v3, v6, v3
	v_add3_u32 v45, v1, v45, v3
	v_add3_u32 v44, v0, v44, v2
	s_cbranch_scc1 .LBB2_7
; %bb.8:                                ;   in Loop: Header=BB2_5 Depth=1
	s_add_u32 s10, s14, s8
	s_mul_i32 s8, s16, s2
	s_addc_u32 s11, s15, s9
	s_ashr_i32 s9, s8, 31
	s_lshl_b64 s[8:9], s[8:9], 2
	s_add_u32 s8, s0, s8
	s_addc_u32 s9, s1, s9
	global_load_dwordx4 v[4:7], v42, s[8:9] offset:-660
	global_load_dwordx4 v[12:15], v42, s[8:9] offset:-644
	;; [unrolled: 1-line block ×8, first 2 shown]
	global_load_dwordx3 v[28:30], v42, s[8:9] offset:-672
	ds_read_b32 v70, v32 offset:1744
	ds_read2_b32 v[50:51], v43 offset1:1
	ds_read2_b32 v[36:37], v31 offset0:253 offset1:254
	ds_read2_b32 v[38:39], v31 offset0:243 offset1:244
	;; [unrolled: 1-line block ×11, first 2 shown]
	s_mov_b32 s5, 0
	s_waitcnt vmcnt(8) lgkmcnt(8)
	v_mul_lo_u32 v53, v53, v4
	v_mul_lo_u32 v52, v52, v5
	s_waitcnt lgkmcnt(7)
	v_mul_lo_u32 v54, v54, v7
	v_mul_lo_u32 v55, v55, v6
	s_waitcnt vmcnt(7) lgkmcnt(6)
	v_mul_lo_u32 v57, v57, v12
	v_mul_lo_u32 v56, v56, v13
	s_waitcnt lgkmcnt(5)
	v_mul_lo_u32 v58, v58, v15
	v_mul_lo_u32 v59, v59, v14
	global_load_dwordx4 v[4:7], v42, s[8:9] offset:-564
	global_load_dwordx4 v[12:15], v42, s[8:9] offset:-580
	s_waitcnt vmcnt(8) lgkmcnt(4)
	v_mul_lo_u32 v61, v61, v24
	v_mul_lo_u32 v60, v60, v25
	s_waitcnt lgkmcnt(3)
	v_mul_lo_u32 v62, v62, v27
	v_mul_lo_u32 v63, v63, v26
	s_waitcnt vmcnt(7) lgkmcnt(2)
	v_mul_lo_u32 v65, v65, v20
	v_mul_lo_u32 v64, v64, v21
	s_waitcnt lgkmcnt(1)
	v_mul_lo_u32 v66, v66, v23
	v_mul_lo_u32 v67, v67, v22
	ds_read2_b32 v[20:21], v31 offset0:251 offset1:252
	ds_read2_b32 v[22:23], v31 offset0:249 offset1:250
	;; [unrolled: 1-line block ×4, first 2 shown]
	s_waitcnt vmcnt(6)
	v_mul_lo_u32 v70, v70, v16
	v_mul_lo_u32 v16, v50, v18
	s_waitcnt vmcnt(5) lgkmcnt(2)
	v_mul_lo_u32 v74, v22, v8
	s_waitcnt lgkmcnt(1)
	v_mul_lo_u32 v72, v24, v10
	v_mul_lo_u32 v73, v25, v9
	s_waitcnt lgkmcnt(0)
	v_mul_lo_u32 v75, v27, v11
	global_load_dwordx4 v[8:11], v42, s[8:9] offset:-548
	s_waitcnt vmcnt(4)
	v_mul_lo_u32 v76, v23, v3
	global_load_dwordx4 v[22:25], v42, s[8:9] offset:-532
	v_mul_lo_u32 v37, v37, v19
	ds_read2_b32 v[18:19], v31 offset0:223 offset1:224
	v_mul_lo_u32 v71, v51, v17
	ds_read2_b32 v[50:51], v31 offset0:221 offset1:222
	s_waitcnt vmcnt(4)
	v_mul_lo_u32 v28, v26, v28
	v_mad_u64_u32 v[26:27], s[18:19], v36, v0, v[16:17]
	s_waitcnt lgkmcnt(1)
	v_mul_lo_u32 v49, v18, v49
	v_mul_lo_u32 v48, v19, v48
	global_load_dwordx4 v[16:19], v42, s[8:9] offset:-516
	v_add_u32_e32 v0, v44, v45
	v_mul_lo_u32 v46, v69, v46
	v_mul_lo_u32 v47, v68, v47
	v_mul_lo_u32 v68, v20, v2
	v_mul_lo_u32 v69, v21, v1
	v_add3_u32 v27, v70, v0, v71
	global_load_dwordx4 v[0:3], v42, s[8:9] offset:-500
	global_load_dwordx2 v[20:21], v42, s[8:9] offset:-484
	v_add3_u32 v27, v37, v27, v69
	v_mul_lo_u32 v29, v39, v29
	v_add3_u32 v26, v68, v26, v74
	v_add3_u32 v27, v76, v27, v73
	v_mul_lo_u32 v30, v38, v30
	v_add3_u32 v26, v72, v26, v28
	v_add3_u32 v27, v75, v27, v29
	;; [unrolled: 1-line block ×12, first 2 shown]
	ds_read2_b32 v[26:27], v31 offset0:219 offset1:220
	s_waitcnt vmcnt(5) lgkmcnt(1)
	v_mul_lo_u32 v30, v51, v12
	v_mul_lo_u32 v12, v50, v13
	v_add3_u32 v28, v49, v28, v12
	ds_read2_b32 v[12:13], v31 offset0:217 offset1:218
	s_waitcnt lgkmcnt(1)
	v_mul_lo_u32 v14, v27, v14
	v_mul_lo_u32 v26, v26, v15
	v_add3_u32 v27, v30, v29, v14
	ds_read2_b32 v[14:15], v31 offset0:215 offset1:216
	s_waitcnt lgkmcnt(1)
	;; [unrolled: 5-line block ×3, first 2 shown]
	v_mul_lo_u32 v6, v15, v6
	v_mul_lo_u32 v14, v14, v7
	v_add3_u32 v13, v13, v27, v6
	ds_read2_b32 v[6:7], v31 offset0:211 offset1:212
	s_waitcnt vmcnt(4) lgkmcnt(1)
	v_mul_lo_u32 v4, v4, v9
	v_mul_lo_u32 v8, v5, v8
	v_add3_u32 v9, v14, v12, v4
	ds_read2_b32 v[4:5], v31 offset0:209 offset1:210
	s_waitcnt lgkmcnt(1)
	v_mul_lo_u32 v11, v6, v11
	v_mul_lo_u32 v6, v7, v10
	v_add3_u32 v8, v8, v13, v6
	ds_read2_b32 v[6:7], v31 offset0:207 offset1:208
	s_waitcnt vmcnt(3) lgkmcnt(1)
	v_mul_lo_u32 v4, v4, v23
	v_mul_lo_u32 v10, v5, v22
	v_add3_u32 v9, v11, v9, v4
	ds_read2_b32 v[4:5], v31 offset0:205 offset1:206
	s_waitcnt lgkmcnt(1)
	;; [unrolled: 10-line block ×3, first 2 shown]
	v_mul_lo_u32 v11, v6, v19
	v_mul_lo_u32 v6, v7, v18
	v_add3_u32 v8, v10, v8, v6
	ds_read2_b32 v[6:7], v31 offset0:199 offset1:200
	s_waitcnt vmcnt(1) lgkmcnt(1)
	v_mul_lo_u32 v5, v5, v0
	v_mul_lo_u32 v4, v4, v1
	ds_read2_b32 v[0:1], v31 offset0:197 offset1:198
	v_add3_u32 v4, v11, v9, v4
	s_waitcnt lgkmcnt(1)
	v_mul_lo_u32 v3, v6, v3
	v_mul_lo_u32 v2, v7, v2
	v_add3_u32 v2, v5, v8, v2
	s_waitcnt vmcnt(0) lgkmcnt(0)
	v_mul_lo_u32 v0, v0, v21
	v_mul_lo_u32 v1, v1, v20
	v_add3_u32 v0, v3, v4, v0
	v_add3_u32 v27, v1, v2, v0
	v_mov_b32_e32 v28, 0
.LBB2_9:                                ;   Parent Loop BB2_5 Depth=1
                                        ; =>  This Inner Loop Header: Depth=2
	global_load_dwordx4 v[0:3], v42, s[10:11]
	global_load_dwordx4 v[4:7], v42, s[10:11] offset:16
	global_load_dwordx4 v[8:11], v42, s[10:11] offset:32
	;; [unrolled: 1-line block ×3, first 2 shown]
	v_add_u32_e32 v26, s5, v41
	ds_read2_b32 v[16:17], v26 offset0:14 offset1:15
	ds_read2_b32 v[18:19], v26 offset0:12 offset1:13
	;; [unrolled: 1-line block ×7, first 2 shown]
	ds_read2_b32 v[44:45], v26 offset1:1
	s_sub_i32 s5, s5, 64
	s_add_u32 s10, s10, 64
	s_addc_u32 s11, s11, 0
	s_cmpk_lg_i32 s5, 0xff00
	s_waitcnt vmcnt(3) lgkmcnt(7)
	v_mul_lo_u32 v1, v16, v1
	v_mul_lo_u32 v0, v17, v0
	s_waitcnt lgkmcnt(6)
	v_mul_lo_u32 v3, v18, v3
	v_mul_lo_u32 v2, v19, v2
	s_waitcnt vmcnt(2) lgkmcnt(5)
	v_mul_lo_u32 v4, v21, v4
	v_mul_lo_u32 v5, v20, v5
	s_waitcnt lgkmcnt(4)
	v_mul_lo_u32 v6, v23, v6
	v_mul_lo_u32 v7, v22, v7
	v_add3_u32 v0, v0, v27, v2
	v_add3_u32 v1, v1, v28, v3
	s_waitcnt vmcnt(1) lgkmcnt(3)
	v_mul_lo_u32 v9, v24, v9
	v_mul_lo_u32 v8, v25, v8
	s_waitcnt lgkmcnt(2)
	v_mul_lo_u32 v11, v36, v11
	v_mul_lo_u32 v10, v37, v10
	v_add3_u32 v1, v5, v1, v7
	v_add3_u32 v0, v4, v0, v6
	;; [unrolled: 8-line block ×3, first 2 shown]
	v_add3_u32 v28, v13, v1, v15
	v_add3_u32 v27, v12, v0, v14
	s_cbranch_scc1 .LBB2_9
; %bb.10:                               ;   in Loop: Header=BB2_5 Depth=1
	global_load_dwordx4 v[4:7], v42, s[8:9] offset:-28
	global_load_dwordx4 v[8:11], v42, s[8:9] offset:-44
	;; [unrolled: 1-line block ×10, first 2 shown]
	ds_read2_b32 v[2:3], v33 offset0:205 offset1:206
	ds_read2_b32 v[24:25], v33 offset0:207 offset1:208
	;; [unrolled: 1-line block ×3, first 2 shown]
	s_waitcnt vmcnt(9) lgkmcnt(2)
	v_mul_lo_u32 v0, v3, v6
	v_mul_lo_u32 v1, v2, v7
	s_waitcnt lgkmcnt(1)
	v_mul_lo_u32 v2, v24, v5
	v_mul_lo_u32 v3, v25, v4
	ds_read2_b32 v[24:25], v33 offset0:211 offset1:212
	ds_read2_b32 v[62:63], v33 offset0:213 offset1:214
	s_waitcnt vmcnt(8) lgkmcnt(2)
	v_mul_lo_u32 v4, v60, v11
	v_mul_lo_u32 v5, v61, v10
	s_waitcnt lgkmcnt(1)
	v_mul_lo_u32 v6, v25, v8
	v_mul_lo_u32 v7, v24, v9
	ds_read2_b32 v[10:11], v33 offset0:215 offset1:216
	ds_read2_b32 v[24:25], v33 offset0:217 offset1:218
	s_waitcnt vmcnt(7) lgkmcnt(2)
	v_mul_lo_u32 v8, v63, v14
	v_mul_lo_u32 v9, v62, v15
	ds_read2_b32 v[60:61], v33 offset0:219 offset1:220
	ds_read2_b32 v[62:63], v33 offset0:221 offset1:222
	s_waitcnt lgkmcnt(3)
	v_mul_lo_u32 v10, v10, v13
	v_mul_lo_u32 v11, v11, v12
	s_waitcnt vmcnt(6) lgkmcnt(2)
	v_mul_lo_u32 v12, v24, v19
	v_mul_lo_u32 v13, v25, v18
	ds_read2_b32 v[18:19], v33 offset0:223 offset1:224
	ds_read2_b32 v[24:25], v33 offset0:225 offset1:226
	s_waitcnt lgkmcnt(3)
	v_mul_lo_u32 v14, v61, v16
	v_mul_lo_u32 v15, v60, v17
	;; [unrolled: 8-line block ×3, first 2 shown]
	s_waitcnt vmcnt(4) lgkmcnt(2)
	v_mul_lo_u32 v20, v24, v39
	v_mul_lo_u32 v21, v25, v38
	s_waitcnt lgkmcnt(1)
	v_mul_lo_u32 v22, v61, v36
	v_mul_lo_u32 v23, v60, v37
	ds_read2_b32 v[36:37], v33 offset0:231 offset1:232
	ds_read2_b32 v[38:39], v33 offset0:233 offset1:234
	s_waitcnt vmcnt(3) lgkmcnt(2)
	v_mul_lo_u32 v24, v63, v46
	v_mul_lo_u32 v25, v62, v47
	s_waitcnt lgkmcnt(1)
	v_mul_lo_u32 v26, v36, v45
	v_mul_lo_u32 v29, v37, v44
	ds_read2_b32 v[36:37], v33 offset0:235 offset1:236
	ds_read2_b32 v[44:45], v33 offset0:237 offset1:238
	;; [unrolled: 8-line block ×3, first 2 shown]
	s_waitcnt vmcnt(1) lgkmcnt(2)
	v_mul_lo_u32 v49, v45, v54
	v_mul_lo_u32 v50, v44, v55
	ds_read2_b32 v[44:45], v33 offset0:245 offset1:246
	s_waitcnt lgkmcnt(2)
	v_mul_lo_u32 v51, v36, v53
	v_mul_lo_u32 v52, v37, v52
	ds_read2_b32 v[36:37], v33 offset0:243 offset1:244
	s_waitcnt vmcnt(0) lgkmcnt(2)
	v_mul_lo_u32 v53, v38, v59
	v_mul_lo_u32 v54, v39, v58
	s_waitcnt lgkmcnt(0)
	v_mul_lo_u32 v55, v37, v56
	v_mul_lo_u32 v56, v36, v57
	global_load_dwordx4 v[36:39], v42, s[8:9] offset:-188
	s_waitcnt vmcnt(0)
	v_mul_lo_u32 v57, v45, v38
	v_mul_lo_u32 v58, v44, v39
	ds_read2_b32 v[38:39], v33 offset0:247 offset1:248
	ds_read2_b32 v[44:45], v33 offset0:249 offset1:250
	s_waitcnt lgkmcnt(1)
	v_mul_lo_u32 v59, v38, v37
	v_mul_lo_u32 v60, v39, v36
	global_load_dwordx4 v[36:39], v42, s[8:9] offset:-204
	s_waitcnt vmcnt(0) lgkmcnt(0)
	v_mul_lo_u32 v61, v44, v39
	v_mul_lo_u32 v62, v45, v38
	ds_read2_b32 v[38:39], v33 offset0:251 offset1:252
	ds_read2_b32 v[44:45], v33 offset0:253 offset1:254
	s_waitcnt lgkmcnt(1)
	v_mul_lo_u32 v63, v39, v36
	v_mul_lo_u32 v64, v38, v37
	global_load_dwordx4 v[36:39], v42, s[8:9] offset:-220
	s_waitcnt vmcnt(0) lgkmcnt(0)
	v_mul_lo_u32 v45, v45, v38
	v_add_u32_e32 v38, 0x3fc, v33
	v_mul_lo_u32 v44, v44, v39
	ds_read2_b32 v[38:39], v38 offset1:1
	s_waitcnt lgkmcnt(0)
	v_mul_lo_u32 v37, v38, v37
	v_mul_lo_u32 v36, v39, v36
	v_add3_u32 v27, v27, v28, v36
	v_add3_u32 v28, v44, v37, v64
	global_load_dwordx3 v[36:38], v42, s[8:9] offset:-12
	v_add3_u32 v27, v45, v27, v63
	v_add3_u32 v27, v62, v27, v60
	;; [unrolled: 1-line block ×11, first 2 shown]
	ds_read2_b32 v[44:45], v33 offset0:203 offset1:204
	ds_read_b32 v39, v33 offset:808
	v_add3_u32 v23, v25, v26, v23
	v_add3_u32 v22, v24, v27, v22
	;; [unrolled: 1-line block ×12, first 2 shown]
	s_waitcnt vmcnt(0) lgkmcnt(1)
	v_mul_lo_u32 v36, v45, v36
	v_mul_lo_u32 v37, v44, v37
	v_add3_u32 v1, v1, v2, v37
	v_add3_u32 v0, v0, v3, v36
	s_waitcnt lgkmcnt(0)
	v_mul_lo_u32 v2, v39, v38
	v_add3_u32 v2, v0, v1, v2
	v_lshl_add_u64 v[0:1], v[34:35], 2, s[8:9]
	global_store_dword v[0:1], v2, off
	s_branch .LBB2_4
.LBB2_11:
	s_endpgm
	.section	.rodata,"a",@progbits
	.p2align	6, 0x0
	.amdhsa_kernel _Z10lastEntGPUPjS_ii
		.amdhsa_group_segment_fixed_size 9216
		.amdhsa_private_segment_fixed_size 0
		.amdhsa_kernarg_size 24
		.amdhsa_user_sgpr_count 2
		.amdhsa_user_sgpr_dispatch_ptr 0
		.amdhsa_user_sgpr_queue_ptr 0
		.amdhsa_user_sgpr_kernarg_segment_ptr 1
		.amdhsa_user_sgpr_dispatch_id 0
		.amdhsa_user_sgpr_kernarg_preload_length 0
		.amdhsa_user_sgpr_kernarg_preload_offset 0
		.amdhsa_user_sgpr_private_segment_size 0
		.amdhsa_uses_dynamic_stack 0
		.amdhsa_enable_private_segment 0
		.amdhsa_system_sgpr_workgroup_id_x 1
		.amdhsa_system_sgpr_workgroup_id_y 0
		.amdhsa_system_sgpr_workgroup_id_z 0
		.amdhsa_system_sgpr_workgroup_info 0
		.amdhsa_system_vgpr_workitem_id 0
		.amdhsa_next_free_vgpr 77
		.amdhsa_next_free_sgpr 20
		.amdhsa_accum_offset 80
		.amdhsa_reserve_vcc 1
		.amdhsa_float_round_mode_32 0
		.amdhsa_float_round_mode_16_64 0
		.amdhsa_float_denorm_mode_32 3
		.amdhsa_float_denorm_mode_16_64 3
		.amdhsa_dx10_clamp 1
		.amdhsa_ieee_mode 1
		.amdhsa_fp16_overflow 0
		.amdhsa_tg_split 0
		.amdhsa_exception_fp_ieee_invalid_op 0
		.amdhsa_exception_fp_denorm_src 0
		.amdhsa_exception_fp_ieee_div_zero 0
		.amdhsa_exception_fp_ieee_overflow 0
		.amdhsa_exception_fp_ieee_underflow 0
		.amdhsa_exception_fp_ieee_inexact 0
		.amdhsa_exception_int_div_zero 0
	.end_amdhsa_kernel
	.text
.Lfunc_end2:
	.size	_Z10lastEntGPUPjS_ii, .Lfunc_end2-_Z10lastEntGPUPjS_ii
                                        ; -- End function
	.set _Z10lastEntGPUPjS_ii.num_vgpr, 77
	.set _Z10lastEntGPUPjS_ii.num_agpr, 0
	.set _Z10lastEntGPUPjS_ii.numbered_sgpr, 20
	.set _Z10lastEntGPUPjS_ii.num_named_barrier, 0
	.set _Z10lastEntGPUPjS_ii.private_seg_size, 0
	.set _Z10lastEntGPUPjS_ii.uses_vcc, 1
	.set _Z10lastEntGPUPjS_ii.uses_flat_scratch, 0
	.set _Z10lastEntGPUPjS_ii.has_dyn_sized_stack, 0
	.set _Z10lastEntGPUPjS_ii.has_recursion, 0
	.set _Z10lastEntGPUPjS_ii.has_indirect_call, 0
	.section	.AMDGPU.csdata,"",@progbits
; Kernel info:
; codeLenInByte = 3304
; TotalNumSgprs: 26
; NumVgprs: 77
; NumAgprs: 0
; TotalNumVgprs: 77
; ScratchSize: 0
; MemoryBound: 0
; FloatMode: 240
; IeeeMode: 1
; LDSByteSize: 9216 bytes/workgroup (compile time only)
; SGPRBlocks: 3
; VGPRBlocks: 9
; NumSGPRsForWavesPerEU: 26
; NumVGPRsForWavesPerEU: 77
; AccumOffset: 80
; Occupancy: 6
; WaveLimiterHint : 0
; COMPUTE_PGM_RSRC2:SCRATCH_EN: 0
; COMPUTE_PGM_RSRC2:USER_SGPR: 2
; COMPUTE_PGM_RSRC2:TRAP_HANDLER: 0
; COMPUTE_PGM_RSRC2:TGID_X_EN: 1
; COMPUTE_PGM_RSRC2:TGID_Y_EN: 0
; COMPUTE_PGM_RSRC2:TGID_Z_EN: 0
; COMPUTE_PGM_RSRC2:TIDIG_COMP_CNT: 0
; COMPUTE_PGM_RSRC3_GFX90A:ACCUM_OFFSET: 19
; COMPUTE_PGM_RSRC3_GFX90A:TG_SPLIT: 0
	.text
	.protected	_Z7colsGPUPjii          ; -- Begin function _Z7colsGPUPjii
	.globl	_Z7colsGPUPjii
	.p2align	8
	.type	_Z7colsGPUPjii,@function
_Z7colsGPUPjii:                         ; @_Z7colsGPUPjii
; %bb.0:
	s_load_dword s3, s[0:1], 0x10
	s_load_dwordx2 s[4:5], s[0:1], 0x8
	s_mov_b32 s10, 8
	s_waitcnt lgkmcnt(0)
	s_add_i32 s3, s3, -1
	s_cmp_eq_u32 s2, s3
	s_cselect_b64 s[8:9], -1, 0
	s_cmp_lg_u32 s2, s3
	s_cbranch_scc1 .LBB3_2
; %bb.1:
	s_ashr_i32 s3, s5, 31
	s_lshr_b32 s3, s3, 29
	s_add_i32 s3, s5, s3
	s_and_b32 s3, s3, -8
	s_sub_i32 s3, s5, s3
	s_cmp_lg_u32 s3, 0
	s_cselect_b32 s10, s3, 8
.LBB3_2:
	s_lshl_b32 s13, s2, 3
	s_load_dwordx2 s[6:7], s[0:1], 0x0
	s_cmp_eq_u32 s2, 0
	s_cselect_b64 s[0:1], -1, 0
	v_cndmask_b32_e64 v4, 0, 1, s[0:1]
	v_cmp_le_i32_e32 vcc, s10, v4
	v_readfirstlane_b32 s5, v4
	v_lshlrev_b32_e32 v1, 2, v0
	s_cbranch_vccnz .LBB3_5
; %bb.3:
	s_add_i32 s0, s13, s5
	s_mul_i32 s0, s4, s0
	v_add_u32_e32 v2, s0, v0
	v_add_u32_e32 v2, 0xffffff00, v2
	v_lshl_add_u32 v5, s5, 11, v1
	v_mov_b32_e32 v3, 0
	s_mov_b32 s0, s5
.LBB3_4:                                ; =>This Inner Loop Header: Depth=1
	s_waitcnt lgkmcnt(0)
	v_lshl_add_u64 v[6:7], v[2:3], 2, s[6:7]
	global_load_dword v6, v[6:7], off
	s_add_i32 s0, s0, 1
	v_add_u32_e32 v2, s4, v2
	s_cmp_ge_i32 s0, s10
	s_waitcnt vmcnt(0)
	ds_write_b32 v5, v6
	v_add_u32_e32 v5, 0x800, v5
	s_cbranch_scc0 .LBB3_4
.LBB3_5:
	s_cmpk_lt_i32 s4, 0x200
	s_waitcnt lgkmcnt(0)
	s_barrier
	s_cbranch_scc1 .LBB3_26
; %bb.6:
	v_lshrrev_b32_e32 v3, 5, v0
	v_and_b32_e32 v2, 31, v0
	v_cmp_gt_i32_e64 s[0:1], s10, v4
	v_or_b32_e32 v4, s2, v0
	v_lshlrev_b32_e32 v2, 2, v2
	v_cmp_gt_i32_e64 s[2:3], s10, v3
	s_xor_b64 s[8:9], s[8:9], -1
	s_add_i32 s13, s13, s5
	s_lshr_b32 s12, s4, 8
	v_cmp_ne_u32_e32 vcc, 0, v4
	v_lshl_or_b32 v2, v3, 11, v2
	s_or_b64 s[2:3], s[8:9], s[2:3]
	s_mul_i32 s8, s4, s13
	s_mov_b32 s11, 0
	s_and_b64 s[2:3], vcc, s[2:3]
	s_add_i32 s12, s12, -2
	v_add_u32_e32 v3, s8, v0
	v_lshl_add_u32 v4, s5, 11, v1
	v_mov_b32_e32 v1, 0
	v_add_u32_e32 v5, 36, v2
	v_add_u32_e32 v6, 0xa4, v2
	;; [unrolled: 1-line block ×3, first 2 shown]
	s_branch .LBB3_8
.LBB3_7:                                ;   in Loop: Header=BB3_8 Depth=1
	s_add_i32 s8, s11, 1
	v_add_u32_e32 v3, 0x100, v3
	s_cmp_eq_u32 s11, s12
	s_mov_b32 s11, s8
	s_waitcnt lgkmcnt(0)
	s_barrier
	s_cbranch_scc1 .LBB3_26
.LBB3_8:                                ; =>This Loop Header: Depth=1
                                        ;     Child Loop BB3_25 Depth 2
	s_and_saveexec_b64 s[8:9], s[2:3]
	s_cbranch_execz .LBB3_10
; %bb.9:                                ;   in Loop: Header=BB3_8 Depth=1
	ds_read2_b32 v[8:9], v2 offset0:137 offset1:201
	ds_read2_b32 v[10:11], v2 offset1:77
	s_waitcnt lgkmcnt(1)
	v_add_u32_e32 v0, v8, v9
	s_waitcnt lgkmcnt(0)
	v_add3_u32 v0, v0, v11, v10
	ds_write_b32 v2, v0 offset:1024
.LBB3_10:                               ;   in Loop: Header=BB3_8 Depth=1
	s_or_b64 exec, exec, s[8:9]
	s_waitcnt lgkmcnt(0)
	s_barrier
	s_and_saveexec_b64 s[8:9], s[2:3]
	s_cbranch_execz .LBB3_12
; %bb.11:                               ;   in Loop: Header=BB3_8 Depth=1
	ds_read2_b32 v[8:9], v2 offset0:169 offset1:233
	ds_read2_b32 v[10:11], v2 offset0:32 offset1:109
	s_waitcnt lgkmcnt(1)
	v_add_u32_e32 v0, v8, v9
	s_waitcnt lgkmcnt(0)
	v_add3_u32 v0, v0, v11, v10
	ds_write_b32 v2, v0 offset:1152
.LBB3_12:                               ;   in Loop: Header=BB3_8 Depth=1
	s_or_b64 exec, exec, s[8:9]
	s_waitcnt lgkmcnt(0)
	s_barrier
	s_and_saveexec_b64 s[8:9], s[2:3]
	s_cbranch_execz .LBB3_14
; %bb.13:                               ;   in Loop: Header=BB3_8 Depth=1
	ds_read2st64_b32 v[8:9], v5 offset0:3 offset1:4
	ds_read2_b32 v[10:11], v2 offset0:64 offset1:141
	s_waitcnt lgkmcnt(1)
	v_add_u32_e32 v0, v8, v9
	s_waitcnt lgkmcnt(0)
	v_add3_u32 v0, v0, v11, v10
	ds_write_b32 v2, v0 offset:1280
.LBB3_14:                               ;   in Loop: Header=BB3_8 Depth=1
	s_or_b64 exec, exec, s[8:9]
	s_waitcnt lgkmcnt(0)
	s_barrier
	s_and_saveexec_b64 s[8:9], s[2:3]
	s_cbranch_execz .LBB3_16
; %bb.15:                               ;   in Loop: Header=BB3_8 Depth=1
	ds_read2st64_b32 v[8:9], v6 offset0:3 offset1:4
	ds_read2_b32 v[10:11], v2 offset0:96 offset1:173
	s_waitcnt lgkmcnt(1)
	v_add_u32_e32 v0, v8, v9
	s_waitcnt lgkmcnt(0)
	v_add3_u32 v0, v0, v11, v10
	ds_write_b32 v2, v0 offset:1408
.LBB3_16:                               ;   in Loop: Header=BB3_8 Depth=1
	;; [unrolled: 14-line block ×6, first 2 shown]
	s_or_b64 exec, exec, s[8:9]
	s_and_b64 vcc, exec, s[0:1]
	v_mov_b32_e32 v8, v4
	v_mov_b32_e32 v0, v3
	s_mov_b32 s8, s5
	s_waitcnt lgkmcnt(0)
	s_barrier
	s_cbranch_vccz .LBB3_7
.LBB3_25:                               ;   Parent Loop BB3_8 Depth=1
                                        ; =>  This Inner Loop Header: Depth=2
	ds_read_b32 v9, v8 offset:1024
	s_add_i32 s8, s8, 1
	v_lshl_add_u64 v[10:11], v[0:1], 2, s[6:7]
	v_add_u32_e32 v0, s4, v0
	s_cmp_ge_i32 s8, s10
	s_waitcnt lgkmcnt(0)
	ds_write_b32 v8, v9
	v_add_u32_e32 v8, 0x800, v8
	global_store_dword v[10:11], v9, off
	s_cbranch_scc0 .LBB3_25
	s_branch .LBB3_7
.LBB3_26:
	s_endpgm
	.section	.rodata,"a",@progbits
	.p2align	6, 0x0
	.amdhsa_kernel _Z7colsGPUPjii
		.amdhsa_group_segment_fixed_size 16384
		.amdhsa_private_segment_fixed_size 0
		.amdhsa_kernarg_size 272
		.amdhsa_user_sgpr_count 2
		.amdhsa_user_sgpr_dispatch_ptr 0
		.amdhsa_user_sgpr_queue_ptr 0
		.amdhsa_user_sgpr_kernarg_segment_ptr 1
		.amdhsa_user_sgpr_dispatch_id 0
		.amdhsa_user_sgpr_kernarg_preload_length 0
		.amdhsa_user_sgpr_kernarg_preload_offset 0
		.amdhsa_user_sgpr_private_segment_size 0
		.amdhsa_uses_dynamic_stack 0
		.amdhsa_enable_private_segment 0
		.amdhsa_system_sgpr_workgroup_id_x 1
		.amdhsa_system_sgpr_workgroup_id_y 0
		.amdhsa_system_sgpr_workgroup_id_z 0
		.amdhsa_system_sgpr_workgroup_info 0
		.amdhsa_system_vgpr_workitem_id 0
		.amdhsa_next_free_vgpr 12
		.amdhsa_next_free_sgpr 14
		.amdhsa_accum_offset 12
		.amdhsa_reserve_vcc 1
		.amdhsa_float_round_mode_32 0
		.amdhsa_float_round_mode_16_64 0
		.amdhsa_float_denorm_mode_32 3
		.amdhsa_float_denorm_mode_16_64 3
		.amdhsa_dx10_clamp 1
		.amdhsa_ieee_mode 1
		.amdhsa_fp16_overflow 0
		.amdhsa_tg_split 0
		.amdhsa_exception_fp_ieee_invalid_op 0
		.amdhsa_exception_fp_denorm_src 0
		.amdhsa_exception_fp_ieee_div_zero 0
		.amdhsa_exception_fp_ieee_overflow 0
		.amdhsa_exception_fp_ieee_underflow 0
		.amdhsa_exception_fp_ieee_inexact 0
		.amdhsa_exception_int_div_zero 0
	.end_amdhsa_kernel
	.text
.Lfunc_end3:
	.size	_Z7colsGPUPjii, .Lfunc_end3-_Z7colsGPUPjii
                                        ; -- End function
	.set _Z7colsGPUPjii.num_vgpr, 12
	.set _Z7colsGPUPjii.num_agpr, 0
	.set _Z7colsGPUPjii.numbered_sgpr, 14
	.set _Z7colsGPUPjii.num_named_barrier, 0
	.set _Z7colsGPUPjii.private_seg_size, 0
	.set _Z7colsGPUPjii.uses_vcc, 1
	.set _Z7colsGPUPjii.uses_flat_scratch, 0
	.set _Z7colsGPUPjii.has_dyn_sized_stack, 0
	.set _Z7colsGPUPjii.has_recursion, 0
	.set _Z7colsGPUPjii.has_indirect_call, 0
	.section	.AMDGPU.csdata,"",@progbits
; Kernel info:
; codeLenInByte = 972
; TotalNumSgprs: 20
; NumVgprs: 12
; NumAgprs: 0
; TotalNumVgprs: 12
; ScratchSize: 0
; MemoryBound: 0
; FloatMode: 240
; IeeeMode: 1
; LDSByteSize: 16384 bytes/workgroup (compile time only)
; SGPRBlocks: 2
; VGPRBlocks: 1
; NumSGPRsForWavesPerEU: 20
; NumVGPRsForWavesPerEU: 12
; AccumOffset: 12
; Occupancy: 8
; WaveLimiterHint : 0
; COMPUTE_PGM_RSRC2:SCRATCH_EN: 0
; COMPUTE_PGM_RSRC2:USER_SGPR: 2
; COMPUTE_PGM_RSRC2:TRAP_HANDLER: 0
; COMPUTE_PGM_RSRC2:TGID_X_EN: 1
; COMPUTE_PGM_RSRC2:TGID_Y_EN: 0
; COMPUTE_PGM_RSRC2:TGID_Z_EN: 0
; COMPUTE_PGM_RSRC2:TIDIG_COMP_CNT: 0
; COMPUTE_PGM_RSRC3_GFX90A:ACCUM_OFFSET: 2
; COMPUTE_PGM_RSRC3_GFX90A:TG_SPLIT: 0
	.text
	.p2alignl 6, 3212836864
	.fill 256, 4, 3212836864
	.section	.AMDGPU.gpr_maximums,"",@progbits
	.set amdgpu.max_num_vgpr, 0
	.set amdgpu.max_num_agpr, 0
	.set amdgpu.max_num_sgpr, 0
	.text
	.type	__hip_cuid_11e291e3dc09e089,@object ; @__hip_cuid_11e291e3dc09e089
	.section	.bss,"aw",@nobits
	.globl	__hip_cuid_11e291e3dc09e089
__hip_cuid_11e291e3dc09e089:
	.byte	0                               ; 0x0
	.size	__hip_cuid_11e291e3dc09e089, 1

	.ident	"AMD clang version 22.0.0git (https://github.com/RadeonOpenCompute/llvm-project roc-7.2.4 26084 f58b06dce1f9c15707c5f808fd002e18c2accf7e)"
	.section	".note.GNU-stack","",@progbits
	.addrsig
	.addrsig_sym __hip_cuid_11e291e3dc09e089
	.amdgpu_metadata
---
amdhsa.kernels:
  - .agpr_count:     0
    .args:
      - .address_space:  global
        .offset:         0
        .size:           8
        .value_kind:     global_buffer
      - .offset:         8
        .size:           4
        .value_kind:     by_value
    .group_segment_fixed_size: 2048
    .kernarg_segment_align: 8
    .kernarg_segment_size: 12
    .language:       OpenCL C
    .language_version:
      - 2
      - 0
    .max_flat_workgroup_size: 1024
    .name:           _Z11firstColGPUPji
    .private_segment_fixed_size: 0
    .sgpr_count:     11
    .sgpr_spill_count: 0
    .symbol:         _Z11firstColGPUPji.kd
    .uniform_work_group_size: 1
    .uses_dynamic_stack: false
    .vgpr_count:     10
    .vgpr_spill_count: 0
    .wavefront_size: 64
  - .agpr_count:     0
    .args:
      - .address_space:  global
        .offset:         0
        .size:           8
        .value_kind:     global_buffer
      - .offset:         8
        .size:           4
        .value_kind:     by_value
    .group_segment_fixed_size: 3072
    .kernarg_segment_align: 8
    .kernarg_segment_size: 12
    .language:       OpenCL C
    .language_version:
      - 2
      - 0
    .max_flat_workgroup_size: 1024
    .name:           _Z7colYGPUPji
    .private_segment_fixed_size: 0
    .sgpr_count:     12
    .sgpr_spill_count: 0
    .symbol:         _Z7colYGPUPji.kd
    .uniform_work_group_size: 1
    .uses_dynamic_stack: false
    .vgpr_count:     12
    .vgpr_spill_count: 0
    .wavefront_size: 64
  - .agpr_count:     0
    .args:
      - .address_space:  global
        .offset:         0
        .size:           8
        .value_kind:     global_buffer
      - .actual_access:  read_only
        .address_space:  global
        .offset:         8
        .size:           8
        .value_kind:     global_buffer
      - .offset:         16
        .size:           4
        .value_kind:     by_value
      - .offset:         20
        .size:           4
        .value_kind:     by_value
    .group_segment_fixed_size: 9216
    .kernarg_segment_align: 8
    .kernarg_segment_size: 24
    .language:       OpenCL C
    .language_version:
      - 2
      - 0
    .max_flat_workgroup_size: 1024
    .name:           _Z10lastEntGPUPjS_ii
    .private_segment_fixed_size: 0
    .sgpr_count:     26
    .sgpr_spill_count: 0
    .symbol:         _Z10lastEntGPUPjS_ii.kd
    .uniform_work_group_size: 1
    .uses_dynamic_stack: false
    .vgpr_count:     77
    .vgpr_spill_count: 0
    .wavefront_size: 64
  - .agpr_count:     0
    .args:
      - .address_space:  global
        .offset:         0
        .size:           8
        .value_kind:     global_buffer
      - .offset:         8
        .size:           4
        .value_kind:     by_value
      - .offset:         12
        .size:           4
        .value_kind:     by_value
      - .offset:         16
        .size:           4
        .value_kind:     hidden_block_count_x
      - .offset:         20
        .size:           4
        .value_kind:     hidden_block_count_y
      - .offset:         24
        .size:           4
        .value_kind:     hidden_block_count_z
      - .offset:         28
        .size:           2
        .value_kind:     hidden_group_size_x
      - .offset:         30
        .size:           2
        .value_kind:     hidden_group_size_y
      - .offset:         32
        .size:           2
        .value_kind:     hidden_group_size_z
      - .offset:         34
        .size:           2
        .value_kind:     hidden_remainder_x
      - .offset:         36
        .size:           2
        .value_kind:     hidden_remainder_y
      - .offset:         38
        .size:           2
        .value_kind:     hidden_remainder_z
      - .offset:         56
        .size:           8
        .value_kind:     hidden_global_offset_x
      - .offset:         64
        .size:           8
        .value_kind:     hidden_global_offset_y
      - .offset:         72
        .size:           8
        .value_kind:     hidden_global_offset_z
      - .offset:         80
        .size:           2
        .value_kind:     hidden_grid_dims
    .group_segment_fixed_size: 16384
    .kernarg_segment_align: 8
    .kernarg_segment_size: 272
    .language:       OpenCL C
    .language_version:
      - 2
      - 0
    .max_flat_workgroup_size: 1024
    .name:           _Z7colsGPUPjii
    .private_segment_fixed_size: 0
    .sgpr_count:     20
    .sgpr_spill_count: 0
    .symbol:         _Z7colsGPUPjii.kd
    .uniform_work_group_size: 1
    .uses_dynamic_stack: false
    .vgpr_count:     12
    .vgpr_spill_count: 0
    .wavefront_size: 64
amdhsa.target:   amdgcn-amd-amdhsa--gfx950
amdhsa.version:
  - 1
  - 2
...

	.end_amdgpu_metadata
